;; amdgpu-corpus repo=zjin-lcf/HeCBench kind=compiled arch=gfx906 opt=O3
	.amdgcn_target "amdgcn-amd-amdhsa--gfx906"
	.amdhsa_code_object_version 6
	.text
	.protected	_Z3epiPKjS0_Pfiiiii     ; -- Begin function _Z3epiPKjS0_Pfiiiii
	.globl	_Z3epiPKjS0_Pfiiiii
	.p2align	8
	.type	_Z3epiPKjS0_Pfiiiii,@function
_Z3epiPKjS0_Pfiiiii:                    ; @_Z3epiPKjS0_Pfiiiii
; %bb.0:
	s_load_dword s0, s[4:5], 0x3c
	s_load_dwordx4 s[8:11], s[4:5], 0x18
	s_waitcnt lgkmcnt(0)
	s_lshr_b32 s1, s0, 16
	s_and_b32 s0, s0, 0xffff
	s_mul_i32 s6, s6, s0
	s_mul_i32 s7, s7, s1
	v_add_u32_e32 v0, s6, v0
	v_add_u32_e32 v14, s7, v1
	v_max_i32_e32 v1, v14, v0
	v_cmp_gt_i32_e32 vcc, v0, v14
	v_cmp_gt_i32_e64 s[0:1], s8, v1
	s_and_b64 s[0:1], s[0:1], vcc
	s_and_saveexec_b64 s[2:3], s[0:1]
	s_cbranch_execz .LBB0_10
; %bb.1:
	s_load_dword s20, s[4:5], 0x28
	s_load_dwordx4 s[12:15], s[4:5], 0x0
	s_load_dwordx2 s[2:3], s[4:5], 0x10
	v_lshlrev_b32_e32 v1, 1, v14
	v_lshlrev_b32_e32 v5, 1, v0
	s_lshl_b32 s0, s9, 1
	v_ashrrev_i32_e32 v2, 31, v1
	v_ashrrev_i32_e32 v6, 31, v5
	s_add_i32 s0, s0, -2
	s_lshl_b32 s4, s8, 1
	s_mul_i32 s6, s0, s8
	v_lshlrev_b64 v[3:4], 2, v[1:2]
	v_lshlrev_b64 v[1:2], 2, v[5:6]
	s_cmp_lt_i32 s6, 1
	s_cbranch_scc1 .LBB0_4
; %bb.2:
	s_ashr_i32 s5, s4, 31
	s_lshl_b64 s[16:17], s[4:5], 2
	v_mov_b32_e32 v11, 0
	s_mov_b32 s5, 0
	s_waitcnt lgkmcnt(0)
	s_mov_b64 s[18:19], s[12:13]
	v_mov_b32_e32 v12, 0
	v_mov_b32_e32 v13, 0
	;; [unrolled: 1-line block ×8, first 2 shown]
.LBB0_3:                                ; =>This Inner Loop Header: Depth=1
	v_mov_b32_e32 v6, s19
	v_add_co_u32_e64 v7, s[0:1], s18, v3
	v_add_co_u32_e32 v5, vcc, s18, v1
	v_addc_co_u32_e64 v8, s[0:1], v6, v4, s[0:1]
	v_addc_co_u32_e32 v6, vcc, v6, v2, vcc
	global_load_dwordx2 v[19:20], v[7:8], off
	global_load_dwordx2 v[21:22], v[5:6], off
	s_add_i32 s5, s5, s4
	s_add_u32 s18, s18, s16
	s_addc_u32 s19, s19, s17
	s_cmp_lt_i32 s5, s6
	s_waitcnt vmcnt(1)
	v_or_b32_e32 v5, v20, v19
	s_waitcnt vmcnt(0)
	v_or_b32_e32 v6, v22, v21
	v_and_b32_e32 v7, v21, v19
	v_and_b32_e32 v8, v22, v19
	v_not_b32_e32 v5, v5
	v_not_b32_e32 v6, v6
	v_and_b32_e32 v23, v21, v20
	v_and_b32_e32 v24, v22, v20
	v_bcnt_u32_b32 v18, v7, v18
	v_bcnt_u32_b32 v17, v8, v17
	v_and_b32_e32 v7, v19, v6
	v_and_b32_e32 v8, v20, v6
	;; [unrolled: 1-line block ×5, first 2 shown]
	v_bcnt_u32_b32 v16, v23, v16
	v_bcnt_u32_b32 v15, v24, v15
	;; [unrolled: 1-line block ×7, first 2 shown]
	s_cbranch_scc1 .LBB0_3
	s_branch .LBB0_5
.LBB0_4:
	v_mov_b32_e32 v18, 0
	v_mov_b32_e32 v17, 0
	;; [unrolled: 1-line block ×9, first 2 shown]
.LBB0_5:
	s_waitcnt lgkmcnt(0)
	v_mov_b32_e32 v5, s13
	v_add_co_u32_e32 v6, vcc, s12, v3
	v_addc_co_u32_e32 v5, vcc, v5, v4, vcc
	v_mov_b32_e32 v7, s13
	v_add_co_u32_e32 v8, vcc, s12, v1
	s_ashr_i32 s7, s6, 31
	v_addc_co_u32_e32 v7, vcc, v7, v2, vcc
	s_lshl_b64 s[0:1], s[6:7], 2
	v_mov_b32_e32 v22, s1
	v_add_co_u32_e32 v19, vcc, s0, v6
	v_addc_co_u32_e32 v20, vcc, v5, v22, vcc
	v_add_co_u32_e32 v21, vcc, s0, v8
	v_addc_co_u32_e32 v22, vcc, v7, v22, vcc
	global_load_dwordx2 v[5:6], v[19:20], off
	global_load_dwordx2 v[7:8], v[21:22], off
	s_lshl_b32 s0, s10, 1
	s_add_i32 s0, s0, -2
	s_mul_i32 s6, s0, s8
	s_cmp_lt_i32 s6, 1
	s_cbranch_scc1 .LBB0_8
; %bb.6:
	s_ashr_i32 s5, s4, 31
	s_lshl_b64 s[12:13], s[4:5], 2
	v_mov_b32_e32 v19, 0
	s_mov_b32 s5, 0
	s_mov_b64 s[16:17], s[14:15]
	v_mov_b32_e32 v22, 0
	v_mov_b32_e32 v23, 0
	;; [unrolled: 1-line block ×8, first 2 shown]
.LBB0_7:                                ; =>This Inner Loop Header: Depth=1
	v_mov_b32_e32 v29, s17
	v_add_co_u32_e32 v28, vcc, s16, v1
	v_add_co_u32_e64 v30, s[0:1], s16, v3
	v_addc_co_u32_e64 v31, s[0:1], v29, v4, s[0:1]
	v_addc_co_u32_e32 v29, vcc, v29, v2, vcc
	global_load_dwordx2 v[30:31], v[30:31], off
	s_nop 0
	global_load_dwordx2 v[28:29], v[28:29], off
	s_add_i32 s5, s5, s4
	s_add_u32 s16, s16, s12
	s_addc_u32 s17, s17, s13
	s_cmp_lt_i32 s5, s6
	s_waitcnt vmcnt(1)
	v_or_b32_e32 v32, v31, v30
	s_waitcnt vmcnt(0)
	v_or_b32_e32 v33, v29, v28
	v_not_b32_e32 v32, v32
	v_not_b32_e32 v33, v33
	v_and_b32_e32 v34, v28, v30
	v_and_b32_e32 v35, v29, v30
	;; [unrolled: 1-line block ×9, first 2 shown]
	v_bcnt_u32_b32 v26, v34, v26
	v_bcnt_u32_b32 v27, v35, v27
	;; [unrolled: 1-line block ×9, first 2 shown]
	s_cbranch_scc1 .LBB0_7
	s_branch .LBB0_9
.LBB0_8:
	v_mov_b32_e32 v26, 0
	v_mov_b32_e32 v27, 0
	;; [unrolled: 1-line block ×9, first 2 shown]
.LBB0_9:
	v_mov_b32_e32 v28, s15
	v_add_co_u32_e32 v3, vcc, s14, v3
	v_addc_co_u32_e32 v4, vcc, v28, v4, vcc
	v_add_co_u32_e32 v29, vcc, s14, v1
	s_ashr_i32 s7, s6, 31
	v_addc_co_u32_e32 v28, vcc, v28, v2, vcc
	s_lshl_b64 s[0:1], s[6:7], 2
	v_mov_b32_e32 v30, s1
	v_add_co_u32_e32 v1, vcc, s0, v3
	v_addc_co_u32_e32 v2, vcc, v4, v30, vcc
	v_add_co_u32_e32 v3, vcc, s0, v29
	v_addc_co_u32_e32 v4, vcc, v28, v30, vcc
	global_load_dwordx2 v[28:29], v[1:2], off
	global_load_dwordx2 v[30:31], v[3:4], off
	s_waitcnt vmcnt(2)
	v_and_b32_e32 v4, v7, v5
	v_and_b32_e32 v32, v8, v5
	v_bcnt_u32_b32 v18, v4, v18
	v_bcnt_u32_b32 v17, v32, v17
	v_cvt_f32_u32_e32 v32, v18
	v_or_b32_e32 v2, v6, v5
	v_or_b32_e32 v3, v8, v7
	s_mov_b32 s6, 0x800000
	v_not_b32_e32 v3, v3
	v_bfi_b32 v2, v2, 0, s11
	v_and_b32_e32 v33, v7, v6
	v_and_b32_e32 v4, s11, v3
	v_and_b32_e32 v7, v2, v7
	v_cmp_gt_f32_e32 vcc, s6, v32
	v_and_b32_e32 v34, v8, v6
	v_and_b32_e32 v8, v2, v8
	v_and_b32_e32 v2, v2, v3
	v_and_b32_e32 v3, v4, v5
	v_and_b32_e32 v5, v4, v6
	v_bcnt_u32_b32 v6, v7, v13
	v_cndmask_b32_e64 v7, 0, 32, vcc
	v_ldexp_f32 v7, v32, v7
	v_bcnt_u32_b32 v16, v33, v16
	v_log_f32_e32 v33, v7
	s_mov_b32 s4, 0x3f317217
	v_bcnt_u32_b32 v4, v8, v12
	v_bcnt_u32_b32 v12, v3, v10
	v_mul_f32_e32 v3, 0x3f317217, v33
	v_fma_f32 v35, v33, s4, -v3
	v_bcnt_u32_b32 v8, v5, v9
	v_bcnt_u32_b32 v2, v2, v11
	v_mad_u64_u32 v[0:1], s[0:1], v14, s8, v[0:1]
	v_bcnt_u32_b32 v14, v34, v15
	s_mov_b32 s5, 0x7f800000
	v_mov_b32_e32 v1, 0x41b17218
	v_fmac_f32_e32 v35, 0x3377d1cf, v33
	v_fmac_f32_e32 v35, 0x3f317217, v33
	v_add_f32_e32 v34, 0.5, v32
	s_waitcnt vmcnt(1)
	v_or_b32_e32 v3, v29, v28
	s_waitcnt vmcnt(0)
	v_and_b32_e32 v7, v30, v28
	v_or_b32_e32 v5, v31, v30
	v_and_b32_e32 v10, v30, v29
	v_and_b32_e32 v13, v31, v29
	v_bfi_b32 v3, v3, 0, s20
	v_bcnt_u32_b32 v26, v7, v26
	v_and_b32_e32 v9, v31, v28
	v_not_b32_e32 v5, v5
	v_bcnt_u32_b32 v11, v10, v25
	v_bcnt_u32_b32 v10, v13, v24
	v_and_b32_e32 v13, v3, v31
	v_add3_u32 v24, v18, v26, 1
	v_bcnt_u32_b32 v15, v9, v27
	v_and_b32_e32 v7, s20, v5
	v_and_b32_e32 v9, v3, v30
	;; [unrolled: 1-line block ×3, first 2 shown]
	v_bcnt_u32_b32 v5, v13, v22
	v_cvt_f32_u32_e32 v22, v24
	v_bcnt_u32_b32 v3, v3, v19
	v_and_b32_e32 v25, v7, v28
	v_and_b32_e32 v27, v7, v29
	v_cmp_gt_f32_e64 s[0:1], s6, v22
	v_cndmask_b32_e64 v19, 0, 32, s[0:1]
	v_ldexp_f32 v19, v22, v19
	v_log_f32_e32 v19, v19
	v_bcnt_u32_b32 v7, v9, v23
	v_bcnt_u32_b32 v13, v25, v21
	;; [unrolled: 1-line block ×3, first 2 shown]
	v_mul_f32_e32 v23, 0x3f317217, v19
	v_fma_f32 v23, v19, s4, -v23
	v_fmac_f32_e32 v23, 0x3377d1cf, v19
	v_add_f32_e32 v20, 0.5, v22
	v_add_f32_e32 v21, -1.0, v22
	v_cndmask_b32_e64 v22, 0, v1, s[0:1]
	v_fmac_f32_e32 v23, 0x3f317217, v19
	v_cmp_lt_f32_e64 s[0:1], |v19|, s5
	v_cndmask_b32_e64 v19, v19, v23, s[0:1]
	v_sub_f32_e32 v19, v19, v22
	v_cvt_f32_u32_e32 v22, v26
	v_fma_f32 v19, v20, v19, -v21
	v_cmp_ne_u32_e64 s[0:1], 0, v24
	v_cndmask_b32_e64 v19, 0, v19, s[0:1]
	v_cmp_lt_f32_e64 s[0:1], |v33|, s5
	v_cndmask_b32_e64 v20, v33, v35, s[0:1]
	v_cndmask_b32_e32 v21, 0, v1, vcc
	v_sub_f32_e32 v20, v20, v21
	v_add_f32_e32 v21, -1.0, v32
	v_cmp_gt_f32_e32 vcc, s6, v22
	v_fma_f32 v20, v34, v20, -v21
	v_cndmask_b32_e64 v21, 0, 32, vcc
	v_ldexp_f32 v21, v22, v21
	v_log_f32_e32 v21, v21
	v_cmp_ne_u32_e64 s[0:1], 0, v18
	v_cndmask_b32_e64 v18, 0, v20, s[0:1]
	v_sub_f32_e32 v18, v19, v18
	v_mul_f32_e32 v20, 0x3f317217, v21
	v_fma_f32 v20, v21, s4, -v20
	v_fmac_f32_e32 v20, 0x3377d1cf, v21
	v_fmac_f32_e32 v20, 0x3f317217, v21
	v_cmp_lt_f32_e64 s[0:1], |v21|, s5
	v_cndmask_b32_e64 v20, v21, v20, s[0:1]
	v_cndmask_b32_e32 v21, 0, v1, vcc
	v_add_f32_e32 v19, 0.5, v22
	v_sub_f32_e32 v20, v20, v21
	v_add_f32_e32 v21, -1.0, v22
	v_add3_u32 v22, v17, v15, 1
	v_cvt_f32_u32_e32 v23, v22
	v_fma_f32 v19, v19, v20, -v21
	v_cmp_ne_u32_e32 vcc, 0, v26
	v_cndmask_b32_e32 v19, 0, v19, vcc
	v_cmp_gt_f32_e32 vcc, s6, v23
	v_cndmask_b32_e64 v20, 0, 32, vcc
	v_ldexp_f32 v20, v23, v20
	v_log_f32_e32 v20, v20
	v_cvt_f32_u32_e32 v24, v17
	v_sub_f32_e32 v18, v18, v19
	v_add_f32_e32 v19, 0.5, v23
	v_mul_f32_e32 v21, 0x3f317217, v20
	v_fma_f32 v21, v20, s4, -v21
	v_fmac_f32_e32 v21, 0x3377d1cf, v20
	v_fmac_f32_e32 v21, 0x3f317217, v20
	v_cmp_lt_f32_e64 s[0:1], |v20|, s5
	v_cndmask_b32_e64 v20, v20, v21, s[0:1]
	v_cndmask_b32_e32 v21, 0, v1, vcc
	v_sub_f32_e32 v20, v20, v21
	v_add_f32_e32 v21, -1.0, v23
	v_cmp_gt_f32_e32 vcc, s6, v24
	v_fma_f32 v19, v19, v20, -v21
	v_cndmask_b32_e64 v20, 0, 32, vcc
	v_ldexp_f32 v20, v24, v20
	v_log_f32_e32 v20, v20
	v_cmp_ne_u32_e64 s[0:1], 0, v22
	v_cvt_f32_u32_e32 v23, v15
	v_cndmask_b32_e64 v19, 0, v19, s[0:1]
	v_mul_f32_e32 v22, 0x3f317217, v20
	v_fma_f32 v22, v20, s4, -v22
	v_fmac_f32_e32 v22, 0x3377d1cf, v20
	v_fmac_f32_e32 v22, 0x3f317217, v20
	v_cmp_lt_f32_e64 s[0:1], |v20|, s5
	v_cndmask_b32_e64 v20, v20, v22, s[0:1]
	v_cndmask_b32_e32 v22, 0, v1, vcc
	v_add_f32_e32 v21, 0.5, v24
	v_sub_f32_e32 v20, v20, v22
	v_add_f32_e32 v22, -1.0, v24
	v_cmp_gt_f32_e32 vcc, s6, v23
	v_fma_f32 v20, v21, v20, -v22
	v_cndmask_b32_e64 v21, 0, 32, vcc
	v_ldexp_f32 v21, v23, v21
	v_log_f32_e32 v21, v21
	v_cmp_ne_u32_e64 s[0:1], 0, v17
	v_cndmask_b32_e64 v17, 0, v20, s[0:1]
	v_add3_u32 v22, v12, v13, 1
	v_mul_f32_e32 v20, 0x3f317217, v21
	v_fma_f32 v20, v21, s4, -v20
	v_fmac_f32_e32 v20, 0x3377d1cf, v21
	v_fmac_f32_e32 v20, 0x3f317217, v21
	v_cmp_lt_f32_e64 s[0:1], |v21|, s5
	v_cndmask_b32_e64 v20, v21, v20, s[0:1]
	v_cndmask_b32_e32 v21, 0, v1, vcc
	v_sub_f32_e32 v17, v19, v17
	v_add_f32_e32 v19, 0.5, v23
	v_sub_f32_e32 v20, v20, v21
	v_add_f32_e32 v21, -1.0, v23
	v_cvt_f32_u32_e32 v23, v22
	v_fma_f32 v19, v19, v20, -v21
	v_cmp_ne_u32_e32 vcc, 0, v15
	v_cndmask_b32_e32 v15, 0, v19, vcc
	v_cmp_gt_f32_e32 vcc, s6, v23
	v_cndmask_b32_e64 v19, 0, 32, vcc
	v_ldexp_f32 v19, v23, v19
	v_log_f32_e32 v19, v19
	v_add_f32_e32 v18, 0, v18
	v_sub_f32_e32 v15, v17, v15
	v_add_f32_e32 v15, v18, v15
	v_mul_f32_e32 v18, 0x3f317217, v19
	v_fma_f32 v18, v19, s4, -v18
	v_cvt_f32_u32_e32 v20, v12
	v_fmac_f32_e32 v18, 0x3377d1cf, v19
	v_fmac_f32_e32 v18, 0x3f317217, v19
	v_cmp_lt_f32_e64 s[0:1], |v19|, s5
	v_cndmask_b32_e64 v18, v19, v18, s[0:1]
	v_cndmask_b32_e32 v19, 0, v1, vcc
	v_add_f32_e32 v17, 0.5, v23
	v_sub_f32_e32 v18, v18, v19
	v_add_f32_e32 v19, -1.0, v23
	v_cmp_gt_f32_e32 vcc, s6, v20
	v_fma_f32 v17, v17, v18, -v19
	v_cndmask_b32_e64 v18, 0, 32, vcc
	v_ldexp_f32 v18, v20, v18
	v_log_f32_e32 v18, v18
	v_cmp_ne_u32_e64 s[0:1], 0, v22
	v_cvt_f32_u32_e32 v22, v13
	v_cndmask_b32_e64 v17, 0, v17, s[0:1]
	v_mul_f32_e32 v21, 0x3f317217, v18
	v_fma_f32 v21, v18, s4, -v21
	v_fmac_f32_e32 v21, 0x3377d1cf, v18
	v_fmac_f32_e32 v21, 0x3f317217, v18
	v_cmp_lt_f32_e64 s[0:1], |v18|, s5
	v_cndmask_b32_e64 v18, v18, v21, s[0:1]
	v_cndmask_b32_e32 v21, 0, v1, vcc
	v_add_f32_e32 v19, 0.5, v20
	v_sub_f32_e32 v18, v18, v21
	v_add_f32_e32 v20, -1.0, v20
	v_cmp_gt_f32_e32 vcc, s6, v22
	v_fma_f32 v18, v19, v18, -v20
	v_cndmask_b32_e64 v19, 0, 32, vcc
	v_ldexp_f32 v19, v22, v19
	v_log_f32_e32 v19, v19
	v_cmp_ne_u32_e64 s[0:1], 0, v12
	v_cndmask_b32_e64 v12, 0, v18, s[0:1]
	v_add3_u32 v20, v16, v11, 1
	v_mul_f32_e32 v18, 0x3f317217, v19
	v_fma_f32 v18, v19, s4, -v18
	v_fmac_f32_e32 v18, 0x3377d1cf, v19
	v_fmac_f32_e32 v18, 0x3f317217, v19
	v_cmp_lt_f32_e64 s[0:1], |v19|, s5
	v_cvt_f32_u32_e32 v21, v20
	v_cndmask_b32_e64 v18, v19, v18, s[0:1]
	v_cndmask_b32_e32 v19, 0, v1, vcc
	v_sub_f32_e32 v12, v17, v12
	v_add_f32_e32 v17, 0.5, v22
	v_sub_f32_e32 v18, v18, v19
	v_add_f32_e32 v19, -1.0, v22
	v_fma_f32 v17, v17, v18, -v19
	v_cmp_ne_u32_e32 vcc, 0, v13
	v_cndmask_b32_e32 v13, 0, v17, vcc
	v_cmp_gt_f32_e32 vcc, s6, v21
	v_cndmask_b32_e64 v17, 0, 32, vcc
	v_ldexp_f32 v17, v21, v17
	v_log_f32_e32 v17, v17
	v_sub_f32_e32 v12, v12, v13
	v_add_f32_e32 v12, v15, v12
	v_cvt_f32_u32_e32 v18, v16
	v_mul_f32_e32 v15, 0x3f317217, v17
	v_fma_f32 v15, v17, s4, -v15
	v_fmac_f32_e32 v15, 0x3377d1cf, v17
	v_fmac_f32_e32 v15, 0x3f317217, v17
	v_cmp_lt_f32_e64 s[0:1], |v17|, s5
	v_cndmask_b32_e64 v15, v17, v15, s[0:1]
	v_cndmask_b32_e32 v17, 0, v1, vcc
	v_add_f32_e32 v13, 0.5, v21
	v_sub_f32_e32 v15, v15, v17
	v_add_f32_e32 v17, -1.0, v21
	v_cmp_gt_f32_e32 vcc, s6, v18
	v_fma_f32 v13, v13, v15, -v17
	v_cndmask_b32_e64 v15, 0, 32, vcc
	v_ldexp_f32 v15, v18, v15
	v_log_f32_e32 v15, v15
	v_cmp_ne_u32_e64 s[0:1], 0, v20
	v_cvt_f32_u32_e32 v20, v11
	v_cndmask_b32_e64 v13, 0, v13, s[0:1]
	v_mul_f32_e32 v19, 0x3f317217, v15
	v_fma_f32 v19, v15, s4, -v19
	v_fmac_f32_e32 v19, 0x3377d1cf, v15
	v_fmac_f32_e32 v19, 0x3f317217, v15
	v_cmp_lt_f32_e64 s[0:1], |v15|, s5
	v_cndmask_b32_e64 v15, v15, v19, s[0:1]
	v_cndmask_b32_e32 v19, 0, v1, vcc
	v_add_f32_e32 v17, 0.5, v18
	v_sub_f32_e32 v15, v15, v19
	v_add_f32_e32 v18, -1.0, v18
	v_cmp_gt_f32_e32 vcc, s6, v20
	v_fma_f32 v15, v17, v15, -v18
	v_cndmask_b32_e64 v17, 0, 32, vcc
	v_ldexp_f32 v17, v20, v17
	v_log_f32_e32 v17, v17
	v_cmp_ne_u32_e64 s[0:1], 0, v16
	v_add3_u32 v18, v14, v10, 1
	v_cndmask_b32_e64 v15, 0, v15, s[0:1]
	v_mul_f32_e32 v16, 0x3f317217, v17
	v_fma_f32 v16, v17, s4, -v16
	v_fmac_f32_e32 v16, 0x3377d1cf, v17
	v_fmac_f32_e32 v16, 0x3f317217, v17
	v_cmp_lt_f32_e64 s[0:1], |v17|, s5
	v_cvt_f32_u32_e32 v19, v18
	v_cndmask_b32_e64 v16, v17, v16, s[0:1]
	v_cndmask_b32_e32 v17, 0, v1, vcc
	v_sub_f32_e32 v13, v13, v15
	v_add_f32_e32 v15, 0.5, v20
	v_sub_f32_e32 v16, v16, v17
	v_add_f32_e32 v17, -1.0, v20
	v_fma_f32 v15, v15, v16, -v17
	v_cmp_ne_u32_e32 vcc, 0, v11
	v_cndmask_b32_e32 v11, 0, v15, vcc
	v_cmp_gt_f32_e32 vcc, s6, v19
	v_cndmask_b32_e64 v15, 0, 32, vcc
	v_ldexp_f32 v15, v19, v15
	v_log_f32_e32 v15, v15
	v_sub_f32_e32 v11, v13, v11
	v_cvt_f32_u32_e32 v16, v14
	v_add_f32_e32 v11, v12, v11
	v_mul_f32_e32 v13, 0x3f317217, v15
	v_fma_f32 v13, v15, s4, -v13
	v_fmac_f32_e32 v13, 0x3377d1cf, v15
	v_fmac_f32_e32 v13, 0x3f317217, v15
	v_cmp_lt_f32_e64 s[0:1], |v15|, s5
	v_cndmask_b32_e64 v13, v15, v13, s[0:1]
	v_cndmask_b32_e32 v15, 0, v1, vcc
	v_add_f32_e32 v12, 0.5, v19
	v_sub_f32_e32 v13, v13, v15
	v_add_f32_e32 v15, -1.0, v19
	v_cmp_gt_f32_e32 vcc, s6, v16
	v_fma_f32 v12, v12, v13, -v15
	v_cndmask_b32_e64 v13, 0, 32, vcc
	v_ldexp_f32 v13, v16, v13
	v_log_f32_e32 v13, v13
	v_cmp_ne_u32_e64 s[0:1], 0, v18
	v_cvt_f32_u32_e32 v18, v10
	v_cndmask_b32_e64 v12, 0, v12, s[0:1]
	v_mul_f32_e32 v17, 0x3f317217, v13
	v_fma_f32 v17, v13, s4, -v17
	v_fmac_f32_e32 v17, 0x3377d1cf, v13
	v_fmac_f32_e32 v17, 0x3f317217, v13
	v_cmp_lt_f32_e64 s[0:1], |v13|, s5
	v_cndmask_b32_e64 v13, v13, v17, s[0:1]
	v_cndmask_b32_e32 v17, 0, v1, vcc
	v_add_f32_e32 v15, 0.5, v16
	v_sub_f32_e32 v13, v13, v17
	v_add_f32_e32 v16, -1.0, v16
	v_cmp_gt_f32_e32 vcc, s6, v18
	v_fma_f32 v13, v15, v13, -v16
	v_cndmask_b32_e64 v15, 0, 32, vcc
	v_ldexp_f32 v15, v18, v15
	v_log_f32_e32 v15, v15
	v_cmp_ne_u32_e64 s[0:1], 0, v14
	v_add3_u32 v16, v8, v9, 1
	v_cndmask_b32_e64 v13, 0, v13, s[0:1]
	v_mul_f32_e32 v14, 0x3f317217, v15
	v_fma_f32 v14, v15, s4, -v14
	v_fmac_f32_e32 v14, 0x3377d1cf, v15
	v_fmac_f32_e32 v14, 0x3f317217, v15
	v_cmp_lt_f32_e64 s[0:1], |v15|, s5
	v_cvt_f32_u32_e32 v17, v16
	v_cndmask_b32_e64 v14, v15, v14, s[0:1]
	v_cndmask_b32_e32 v15, 0, v1, vcc
	v_sub_f32_e32 v12, v12, v13
	v_add_f32_e32 v13, 0.5, v18
	v_sub_f32_e32 v14, v14, v15
	v_add_f32_e32 v15, -1.0, v18
	v_fma_f32 v13, v13, v14, -v15
	v_cmp_ne_u32_e32 vcc, 0, v10
	v_cndmask_b32_e32 v10, 0, v13, vcc
	v_cmp_gt_f32_e32 vcc, s6, v17
	v_cndmask_b32_e64 v13, 0, 32, vcc
	v_ldexp_f32 v13, v17, v13
	v_log_f32_e32 v13, v13
	v_sub_f32_e32 v10, v12, v10
	v_cvt_f32_u32_e32 v14, v8
	v_add_f32_e32 v10, v11, v10
	v_mul_f32_e32 v12, 0x3f317217, v13
	v_fma_f32 v12, v13, s4, -v12
	v_fmac_f32_e32 v12, 0x3377d1cf, v13
	v_fmac_f32_e32 v12, 0x3f317217, v13
	v_cmp_lt_f32_e64 s[0:1], |v13|, s5
	v_cndmask_b32_e64 v12, v13, v12, s[0:1]
	v_cndmask_b32_e32 v13, 0, v1, vcc
	v_add_f32_e32 v11, 0.5, v17
	v_sub_f32_e32 v12, v12, v13
	v_add_f32_e32 v13, -1.0, v17
	v_cmp_gt_f32_e32 vcc, s6, v14
	v_fma_f32 v11, v11, v12, -v13
	v_cndmask_b32_e64 v12, 0, 32, vcc
	v_ldexp_f32 v12, v14, v12
	v_log_f32_e32 v12, v12
	v_cmp_ne_u32_e64 s[0:1], 0, v16
	v_cvt_f32_u32_e32 v16, v9
	v_cndmask_b32_e64 v11, 0, v11, s[0:1]
	v_mul_f32_e32 v15, 0x3f317217, v12
	v_fma_f32 v15, v12, s4, -v15
	v_fmac_f32_e32 v15, 0x3377d1cf, v12
	v_fmac_f32_e32 v15, 0x3f317217, v12
	v_cmp_lt_f32_e64 s[0:1], |v12|, s5
	v_cndmask_b32_e64 v12, v12, v15, s[0:1]
	v_cndmask_b32_e32 v15, 0, v1, vcc
	v_add_f32_e32 v13, 0.5, v14
	v_sub_f32_e32 v12, v12, v15
	v_add_f32_e32 v14, -1.0, v14
	v_cmp_gt_f32_e32 vcc, s6, v16
	v_fma_f32 v12, v13, v12, -v14
	v_cndmask_b32_e64 v13, 0, 32, vcc
	v_ldexp_f32 v13, v16, v13
	v_log_f32_e32 v13, v13
	v_cmp_ne_u32_e64 s[0:1], 0, v8
	v_cndmask_b32_e64 v8, 0, v12, s[0:1]
	v_add3_u32 v14, v6, v7, 1
	v_mul_f32_e32 v12, 0x3f317217, v13
	v_fma_f32 v12, v13, s4, -v12
	v_fmac_f32_e32 v12, 0x3377d1cf, v13
	v_fmac_f32_e32 v12, 0x3f317217, v13
	v_cmp_lt_f32_e64 s[0:1], |v13|, s5
	v_cvt_f32_u32_e32 v15, v14
	v_cndmask_b32_e64 v12, v13, v12, s[0:1]
	v_cndmask_b32_e32 v13, 0, v1, vcc
	v_sub_f32_e32 v8, v11, v8
	v_add_f32_e32 v11, 0.5, v16
	v_sub_f32_e32 v12, v12, v13
	v_add_f32_e32 v13, -1.0, v16
	v_fma_f32 v11, v11, v12, -v13
	v_cmp_ne_u32_e32 vcc, 0, v9
	v_cndmask_b32_e32 v9, 0, v11, vcc
	v_cmp_gt_f32_e32 vcc, s6, v15
	v_cndmask_b32_e64 v11, 0, 32, vcc
	v_ldexp_f32 v11, v15, v11
	v_log_f32_e32 v11, v11
	v_sub_f32_e32 v8, v8, v9
	v_add_f32_e32 v8, v10, v8
	v_cvt_f32_u32_e32 v12, v6
	v_mul_f32_e32 v10, 0x3f317217, v11
	v_fma_f32 v10, v11, s4, -v10
	v_fmac_f32_e32 v10, 0x3377d1cf, v11
	v_fmac_f32_e32 v10, 0x3f317217, v11
	v_cmp_lt_f32_e64 s[0:1], |v11|, s5
	v_cndmask_b32_e64 v10, v11, v10, s[0:1]
	v_cndmask_b32_e32 v11, 0, v1, vcc
	v_add_f32_e32 v9, 0.5, v15
	v_sub_f32_e32 v10, v10, v11
	v_add_f32_e32 v11, -1.0, v15
	v_cmp_gt_f32_e32 vcc, s6, v12
	v_fma_f32 v9, v9, v10, -v11
	v_cndmask_b32_e64 v10, 0, 32, vcc
	v_ldexp_f32 v10, v12, v10
	v_log_f32_e32 v10, v10
	v_cmp_ne_u32_e64 s[0:1], 0, v14
	v_cvt_f32_u32_e32 v14, v7
	v_cndmask_b32_e64 v9, 0, v9, s[0:1]
	v_mul_f32_e32 v13, 0x3f317217, v10
	v_fma_f32 v13, v10, s4, -v13
	v_fmac_f32_e32 v13, 0x3377d1cf, v10
	v_fmac_f32_e32 v13, 0x3f317217, v10
	v_cmp_lt_f32_e64 s[0:1], |v10|, s5
	v_cndmask_b32_e64 v10, v10, v13, s[0:1]
	v_cndmask_b32_e32 v13, 0, v1, vcc
	v_add_f32_e32 v11, 0.5, v12
	v_sub_f32_e32 v10, v10, v13
	v_add_f32_e32 v12, -1.0, v12
	v_cmp_gt_f32_e32 vcc, s6, v14
	v_fma_f32 v10, v11, v10, -v12
	v_cndmask_b32_e64 v11, 0, 32, vcc
	v_ldexp_f32 v11, v14, v11
	v_log_f32_e32 v11, v11
	v_cmp_ne_u32_e64 s[0:1], 0, v6
	v_cndmask_b32_e64 v6, 0, v10, s[0:1]
	v_add3_u32 v12, v4, v5, 1
	v_mul_f32_e32 v10, 0x3f317217, v11
	v_fma_f32 v10, v11, s4, -v10
	v_fmac_f32_e32 v10, 0x3377d1cf, v11
	v_fmac_f32_e32 v10, 0x3f317217, v11
	v_cmp_lt_f32_e64 s[0:1], |v11|, s5
	v_cvt_f32_u32_e32 v13, v12
	v_cndmask_b32_e64 v10, v11, v10, s[0:1]
	v_cndmask_b32_e32 v11, 0, v1, vcc
	v_sub_f32_e32 v6, v9, v6
	v_add_f32_e32 v9, 0.5, v14
	v_sub_f32_e32 v10, v10, v11
	v_add_f32_e32 v11, -1.0, v14
	v_fma_f32 v9, v9, v10, -v11
	v_cmp_ne_u32_e32 vcc, 0, v7
	v_cndmask_b32_e32 v7, 0, v9, vcc
	v_cmp_gt_f32_e32 vcc, s6, v13
	v_cndmask_b32_e64 v9, 0, 32, vcc
	v_ldexp_f32 v9, v13, v9
	v_log_f32_e32 v9, v9
	v_sub_f32_e32 v6, v6, v7
	v_add_f32_e32 v6, v8, v6
	v_cvt_f32_u32_e32 v10, v4
	;; [unrolled: 58-line block ×3, first 2 shown]
	v_mul_f32_e32 v6, 0x3f317217, v7
	v_fma_f32 v6, v7, s4, -v6
	v_fmac_f32_e32 v6, 0x3377d1cf, v7
	v_fmac_f32_e32 v6, 0x3f317217, v7
	v_cmp_lt_f32_e64 s[0:1], |v7|, s5
	v_cndmask_b32_e64 v6, v7, v6, s[0:1]
	v_cndmask_b32_e32 v7, 0, v1, vcc
	v_add_f32_e32 v5, 0.5, v11
	v_sub_f32_e32 v6, v6, v7
	v_add_f32_e32 v7, -1.0, v11
	v_cmp_gt_f32_e32 vcc, s6, v8
	v_fma_f32 v5, v5, v6, -v7
	v_cndmask_b32_e64 v6, 0, 32, vcc
	v_ldexp_f32 v6, v8, v6
	v_log_f32_e32 v6, v6
	v_cmp_ne_u32_e64 s[0:1], 0, v10
	v_cvt_f32_u32_e32 v10, v3
	v_cndmask_b32_e64 v5, 0, v5, s[0:1]
	v_mul_f32_e32 v9, 0x3f317217, v6
	v_fma_f32 v9, v6, s4, -v9
	v_fmac_f32_e32 v9, 0x3377d1cf, v6
	v_fmac_f32_e32 v9, 0x3f317217, v6
	v_cmp_lt_f32_e64 s[0:1], |v6|, s5
	v_cndmask_b32_e64 v6, v6, v9, s[0:1]
	v_cndmask_b32_e32 v9, 0, v1, vcc
	v_add_f32_e32 v7, 0.5, v8
	v_sub_f32_e32 v6, v6, v9
	v_add_f32_e32 v8, -1.0, v8
	v_cmp_gt_f32_e32 vcc, s6, v10
	v_fma_f32 v6, v7, v6, -v8
	v_cndmask_b32_e64 v7, 0, 32, vcc
	v_ldexp_f32 v7, v10, v7
	v_log_f32_e32 v7, v7
	v_cmp_ne_u32_e64 s[0:1], 0, v2
	v_cndmask_b32_e64 v2, 0, v6, s[0:1]
	v_cndmask_b32_e32 v1, 0, v1, vcc
	v_mul_f32_e32 v6, 0x3f317217, v7
	v_fma_f32 v6, v7, s4, -v6
	v_fmac_f32_e32 v6, 0x3377d1cf, v7
	v_fmac_f32_e32 v6, 0x3f317217, v7
	v_cmp_lt_f32_e64 s[0:1], |v7|, s5
	v_cndmask_b32_e64 v6, v7, v6, s[0:1]
	v_sub_f32_e32 v2, v5, v2
	v_add_f32_e32 v5, 0.5, v10
	v_sub_f32_e32 v1, v6, v1
	v_add_f32_e32 v6, -1.0, v10
	v_fma_f32 v1, v5, v1, -v6
	v_cmp_ne_u32_e32 vcc, 0, v3
	v_cndmask_b32_e32 v1, 0, v1, vcc
	v_sub_f32_e32 v1, v2, v1
	v_add_f32_e32 v1, v4, v1
	v_mov_b32_e32 v2, 0x7f7fffff
	v_cmp_neq_f32_e32 vcc, 0, v1
	v_cndmask_b32_e64 v2, v2, |v1|, vcc
	v_ashrrev_i32_e32 v1, 31, v0
	v_lshlrev_b64 v[0:1], 2, v[0:1]
	v_mov_b32_e32 v3, s3
	v_add_co_u32_e32 v0, vcc, s2, v0
	v_addc_co_u32_e32 v1, vcc, v3, v1, vcc
	global_store_dword v[0:1], v2, off
.LBB0_10:
	s_endpgm
	.section	.rodata,"a",@progbits
	.p2align	6, 0x0
	.amdhsa_kernel _Z3epiPKjS0_Pfiiiii
		.amdhsa_group_segment_fixed_size 0
		.amdhsa_private_segment_fixed_size 0
		.amdhsa_kernarg_size 304
		.amdhsa_user_sgpr_count 6
		.amdhsa_user_sgpr_private_segment_buffer 1
		.amdhsa_user_sgpr_dispatch_ptr 0
		.amdhsa_user_sgpr_queue_ptr 0
		.amdhsa_user_sgpr_kernarg_segment_ptr 1
		.amdhsa_user_sgpr_dispatch_id 0
		.amdhsa_user_sgpr_flat_scratch_init 0
		.amdhsa_user_sgpr_private_segment_size 0
		.amdhsa_uses_dynamic_stack 0
		.amdhsa_system_sgpr_private_segment_wavefront_offset 0
		.amdhsa_system_sgpr_workgroup_id_x 1
		.amdhsa_system_sgpr_workgroup_id_y 1
		.amdhsa_system_sgpr_workgroup_id_z 0
		.amdhsa_system_sgpr_workgroup_info 0
		.amdhsa_system_vgpr_workitem_id 1
		.amdhsa_next_free_vgpr 38
		.amdhsa_next_free_sgpr 21
		.amdhsa_reserve_vcc 1
		.amdhsa_reserve_flat_scratch 0
		.amdhsa_float_round_mode_32 0
		.amdhsa_float_round_mode_16_64 0
		.amdhsa_float_denorm_mode_32 3
		.amdhsa_float_denorm_mode_16_64 3
		.amdhsa_dx10_clamp 1
		.amdhsa_ieee_mode 1
		.amdhsa_fp16_overflow 0
		.amdhsa_exception_fp_ieee_invalid_op 0
		.amdhsa_exception_fp_denorm_src 0
		.amdhsa_exception_fp_ieee_div_zero 0
		.amdhsa_exception_fp_ieee_overflow 0
		.amdhsa_exception_fp_ieee_underflow 0
		.amdhsa_exception_fp_ieee_inexact 0
		.amdhsa_exception_int_div_zero 0
	.end_amdhsa_kernel
	.text
.Lfunc_end0:
	.size	_Z3epiPKjS0_Pfiiiii, .Lfunc_end0-_Z3epiPKjS0_Pfiiiii
                                        ; -- End function
	.set _Z3epiPKjS0_Pfiiiii.num_vgpr, 38
	.set _Z3epiPKjS0_Pfiiiii.num_agpr, 0
	.set _Z3epiPKjS0_Pfiiiii.numbered_sgpr, 21
	.set _Z3epiPKjS0_Pfiiiii.num_named_barrier, 0
	.set _Z3epiPKjS0_Pfiiiii.private_seg_size, 0
	.set _Z3epiPKjS0_Pfiiiii.uses_vcc, 1
	.set _Z3epiPKjS0_Pfiiiii.uses_flat_scratch, 0
	.set _Z3epiPKjS0_Pfiiiii.has_dyn_sized_stack, 0
	.set _Z3epiPKjS0_Pfiiiii.has_recursion, 0
	.set _Z3epiPKjS0_Pfiiiii.has_indirect_call, 0
	.section	.AMDGPU.csdata,"",@progbits
; Kernel info:
; codeLenInByte = 4516
; TotalNumSgprs: 25
; NumVgprs: 38
; ScratchSize: 0
; MemoryBound: 0
; FloatMode: 240
; IeeeMode: 1
; LDSByteSize: 0 bytes/workgroup (compile time only)
; SGPRBlocks: 3
; VGPRBlocks: 9
; NumSGPRsForWavesPerEU: 25
; NumVGPRsForWavesPerEU: 38
; Occupancy: 6
; WaveLimiterHint : 0
; COMPUTE_PGM_RSRC2:SCRATCH_EN: 0
; COMPUTE_PGM_RSRC2:USER_SGPR: 6
; COMPUTE_PGM_RSRC2:TRAP_HANDLER: 0
; COMPUTE_PGM_RSRC2:TGID_X_EN: 1
; COMPUTE_PGM_RSRC2:TGID_Y_EN: 1
; COMPUTE_PGM_RSRC2:TGID_Z_EN: 0
; COMPUTE_PGM_RSRC2:TIDIG_COMP_CNT: 1
	.section	.AMDGPU.gpr_maximums,"",@progbits
	.set amdgpu.max_num_vgpr, 0
	.set amdgpu.max_num_agpr, 0
	.set amdgpu.max_num_sgpr, 0
	.section	.AMDGPU.csdata,"",@progbits
	.type	__hip_cuid_878d8001a96d5b08,@object ; @__hip_cuid_878d8001a96d5b08
	.section	.bss,"aw",@nobits
	.globl	__hip_cuid_878d8001a96d5b08
__hip_cuid_878d8001a96d5b08:
	.byte	0                               ; 0x0
	.size	__hip_cuid_878d8001a96d5b08, 1

	.ident	"AMD clang version 22.0.0git (https://github.com/RadeonOpenCompute/llvm-project roc-7.2.4 26084 f58b06dce1f9c15707c5f808fd002e18c2accf7e)"
	.section	".note.GNU-stack","",@progbits
	.addrsig
	.addrsig_sym __hip_cuid_878d8001a96d5b08
	.amdgpu_metadata
---
amdhsa.kernels:
  - .args:
      - .address_space:  global
        .offset:         0
        .size:           8
        .value_kind:     global_buffer
      - .address_space:  global
        .offset:         8
        .size:           8
        .value_kind:     global_buffer
      - .address_space:  global
        .offset:         16
        .size:           8
        .value_kind:     global_buffer
      - .offset:         24
        .size:           4
        .value_kind:     by_value
      - .offset:         28
        .size:           4
        .value_kind:     by_value
      - .offset:         32
        .size:           4
        .value_kind:     by_value
      - .offset:         36
        .size:           4
        .value_kind:     by_value
      - .offset:         40
        .size:           4
        .value_kind:     by_value
      - .offset:         48
        .size:           4
        .value_kind:     hidden_block_count_x
      - .offset:         52
        .size:           4
        .value_kind:     hidden_block_count_y
      - .offset:         56
        .size:           4
        .value_kind:     hidden_block_count_z
      - .offset:         60
        .size:           2
        .value_kind:     hidden_group_size_x
      - .offset:         62
        .size:           2
        .value_kind:     hidden_group_size_y
      - .offset:         64
        .size:           2
        .value_kind:     hidden_group_size_z
      - .offset:         66
        .size:           2
        .value_kind:     hidden_remainder_x
      - .offset:         68
        .size:           2
        .value_kind:     hidden_remainder_y
      - .offset:         70
        .size:           2
        .value_kind:     hidden_remainder_z
      - .offset:         88
        .size:           8
        .value_kind:     hidden_global_offset_x
      - .offset:         96
        .size:           8
        .value_kind:     hidden_global_offset_y
      - .offset:         104
        .size:           8
        .value_kind:     hidden_global_offset_z
      - .offset:         112
        .size:           2
        .value_kind:     hidden_grid_dims
    .group_segment_fixed_size: 0
    .kernarg_segment_align: 8
    .kernarg_segment_size: 304
    .language:       OpenCL C
    .language_version:
      - 2
      - 0
    .max_flat_workgroup_size: 1024
    .name:           _Z3epiPKjS0_Pfiiiii
    .private_segment_fixed_size: 0
    .sgpr_count:     25
    .sgpr_spill_count: 0
    .symbol:         _Z3epiPKjS0_Pfiiiii.kd
    .uniform_work_group_size: 1
    .uses_dynamic_stack: false
    .vgpr_count:     38
    .vgpr_spill_count: 0
    .wavefront_size: 64
amdhsa.target:   amdgcn-amd-amdhsa--gfx906
amdhsa.version:
  - 1
  - 2
...

	.end_amdgpu_metadata
